;; amdgpu-corpus repo=ROCm/rocFFT kind=compiled arch=gfx950 opt=O3
	.text
	.amdgcn_target "amdgcn-amd-amdhsa--gfx950"
	.amdhsa_code_object_version 6
	.protected	fft_rtc_fwd_len512_factors_8_8_8_wgs_64_tpt_64_halfLds_half_op_CI_CI_sbrr_dirReg ; -- Begin function fft_rtc_fwd_len512_factors_8_8_8_wgs_64_tpt_64_halfLds_half_op_CI_CI_sbrr_dirReg
	.globl	fft_rtc_fwd_len512_factors_8_8_8_wgs_64_tpt_64_halfLds_half_op_CI_CI_sbrr_dirReg
	.p2align	8
	.type	fft_rtc_fwd_len512_factors_8_8_8_wgs_64_tpt_64_halfLds_half_op_CI_CI_sbrr_dirReg,@function
fft_rtc_fwd_len512_factors_8_8_8_wgs_64_tpt_64_halfLds_half_op_CI_CI_sbrr_dirReg: ; @fft_rtc_fwd_len512_factors_8_8_8_wgs_64_tpt_64_halfLds_half_op_CI_CI_sbrr_dirReg
; %bb.0:
	s_load_dwordx4 s[12:15], s[0:1], 0x18
	s_load_dwordx4 s[8:11], s[0:1], 0x0
	;; [unrolled: 1-line block ×3, first 2 shown]
	v_mov_b32_e32 v10, s2
	v_mov_b32_e32 v8, 0
	s_waitcnt lgkmcnt(0)
	s_load_dwordx2 s[18:19], s[12:13], 0x0
	s_load_dwordx2 s[16:17], s[14:15], 0x0
	v_cmp_lt_u64_e64 s[2:3], s[10:11], 2
	v_mov_b32_e32 v11, v8
	s_and_b64 vcc, exec, s[2:3]
	v_mov_b64_e32 v[6:7], 0
	s_cbranch_vccnz .LBB0_8
; %bb.1:
	s_load_dwordx2 s[2:3], s[0:1], 0x10
	s_add_u32 s20, s14, 8
	s_addc_u32 s21, s15, 0
	s_add_u32 s22, s12, 8
	s_addc_u32 s23, s13, 0
	s_waitcnt lgkmcnt(0)
	s_add_u32 s24, s2, 8
	v_mov_b64_e32 v[6:7], 0
	s_addc_u32 s25, s3, 0
	s_mov_b64 s[26:27], 1
	v_mov_b64_e32 v[2:3], v[6:7]
.LBB0_2:                                ; =>This Inner Loop Header: Depth=1
	s_load_dwordx2 s[28:29], s[24:25], 0x0
                                        ; implicit-def: $vgpr4_vgpr5
	s_waitcnt lgkmcnt(0)
	v_or_b32_e32 v9, s29, v11
	v_cmp_ne_u64_e32 vcc, 0, v[8:9]
	s_and_saveexec_b64 s[2:3], vcc
	s_xor_b64 s[30:31], exec, s[2:3]
	s_cbranch_execz .LBB0_4
; %bb.3:                                ;   in Loop: Header=BB0_2 Depth=1
	v_cvt_f32_u32_e32 v1, s28
	v_cvt_f32_u32_e32 v4, s29
	s_sub_u32 s2, 0, s28
	s_subb_u32 s3, 0, s29
	v_fmac_f32_e32 v1, 0x4f800000, v4
	v_rcp_f32_e32 v1, v1
	s_nop 0
	v_mul_f32_e32 v1, 0x5f7ffffc, v1
	v_mul_f32_e32 v4, 0x2f800000, v1
	v_trunc_f32_e32 v4, v4
	v_fmac_f32_e32 v1, 0xcf800000, v4
	v_cvt_u32_f32_e32 v9, v4
	v_cvt_u32_f32_e32 v1, v1
	v_mul_lo_u32 v4, s2, v9
	v_mul_hi_u32 v12, s2, v1
	v_mul_lo_u32 v5, s3, v1
	v_add_u32_e32 v12, v12, v4
	v_mul_lo_u32 v14, s2, v1
	v_add_u32_e32 v15, v12, v5
	v_mul_hi_u32 v4, v1, v14
	v_mul_hi_u32 v13, v1, v15
	v_mul_lo_u32 v12, v1, v15
	v_mov_b32_e32 v5, v8
	v_lshl_add_u64 v[4:5], v[4:5], 0, v[12:13]
	v_mul_hi_u32 v13, v9, v14
	v_mul_lo_u32 v14, v9, v14
	v_add_co_u32_e32 v4, vcc, v4, v14
	v_mul_hi_u32 v12, v9, v15
	s_nop 0
	v_addc_co_u32_e32 v4, vcc, v5, v13, vcc
	v_mov_b32_e32 v5, v8
	s_nop 0
	v_addc_co_u32_e32 v13, vcc, 0, v12, vcc
	v_mul_lo_u32 v12, v9, v15
	v_lshl_add_u64 v[4:5], v[4:5], 0, v[12:13]
	v_add_co_u32_e32 v1, vcc, v1, v4
	v_mul_lo_u32 v12, s2, v1
	s_nop 0
	v_addc_co_u32_e32 v9, vcc, v9, v5, vcc
	v_mul_lo_u32 v4, s2, v9
	v_mul_hi_u32 v5, s2, v1
	v_add_u32_e32 v4, v5, v4
	v_mul_lo_u32 v5, s3, v1
	v_add_u32_e32 v14, v4, v5
	v_mul_hi_u32 v16, v9, v12
	v_mul_lo_u32 v17, v9, v12
	v_mul_hi_u32 v5, v1, v14
	v_mul_lo_u32 v4, v1, v14
	v_mul_hi_u32 v12, v1, v12
	v_mov_b32_e32 v13, v8
	v_lshl_add_u64 v[4:5], v[12:13], 0, v[4:5]
	v_add_co_u32_e32 v4, vcc, v4, v17
	v_mul_hi_u32 v15, v9, v14
	s_nop 0
	v_addc_co_u32_e32 v4, vcc, v5, v16, vcc
	v_mul_lo_u32 v12, v9, v14
	s_nop 0
	v_addc_co_u32_e32 v13, vcc, 0, v15, vcc
	v_mov_b32_e32 v5, v8
	v_lshl_add_u64 v[4:5], v[4:5], 0, v[12:13]
	v_add_co_u32_e32 v1, vcc, v1, v4
	v_mul_hi_u32 v12, v10, v1
	s_nop 0
	v_addc_co_u32_e32 v9, vcc, v9, v5, vcc
	v_mad_u64_u32 v[4:5], s[2:3], v10, v9, 0
	v_mov_b32_e32 v13, v8
	v_lshl_add_u64 v[4:5], v[12:13], 0, v[4:5]
	v_mad_u64_u32 v[14:15], s[2:3], v11, v1, 0
	v_add_co_u32_e32 v1, vcc, v4, v14
	v_mad_u64_u32 v[12:13], s[2:3], v11, v9, 0
	s_nop 0
	v_addc_co_u32_e32 v4, vcc, v5, v15, vcc
	v_mov_b32_e32 v5, v8
	s_nop 0
	v_addc_co_u32_e32 v13, vcc, 0, v13, vcc
	v_lshl_add_u64 v[4:5], v[4:5], 0, v[12:13]
	v_mul_lo_u32 v1, s29, v4
	v_mul_lo_u32 v9, s28, v5
	v_mad_u64_u32 v[12:13], s[2:3], s28, v4, 0
	v_add3_u32 v1, v13, v9, v1
	v_sub_u32_e32 v9, v11, v1
	v_mov_b32_e32 v13, s29
	v_sub_co_u32_e32 v16, vcc, v10, v12
	v_lshl_add_u64 v[14:15], v[4:5], 0, 1
	s_nop 0
	v_subb_co_u32_e64 v9, s[2:3], v9, v13, vcc
	v_subrev_co_u32_e64 v12, s[2:3], s28, v16
	v_subb_co_u32_e32 v1, vcc, v11, v1, vcc
	s_nop 0
	v_subbrev_co_u32_e64 v9, s[2:3], 0, v9, s[2:3]
	v_cmp_le_u32_e64 s[2:3], s29, v9
	v_cmp_le_u32_e32 vcc, s29, v1
	s_nop 0
	v_cndmask_b32_e64 v13, 0, -1, s[2:3]
	v_cmp_le_u32_e64 s[2:3], s28, v12
	s_nop 1
	v_cndmask_b32_e64 v12, 0, -1, s[2:3]
	v_cmp_eq_u32_e64 s[2:3], s29, v9
	s_nop 1
	v_cndmask_b32_e64 v9, v13, v12, s[2:3]
	v_lshl_add_u64 v[12:13], v[4:5], 0, 2
	v_cmp_ne_u32_e64 s[2:3], 0, v9
	s_nop 1
	v_cndmask_b32_e64 v9, v15, v13, s[2:3]
	v_cndmask_b32_e64 v13, 0, -1, vcc
	v_cmp_le_u32_e32 vcc, s28, v16
	s_nop 1
	v_cndmask_b32_e64 v15, 0, -1, vcc
	v_cmp_eq_u32_e32 vcc, s29, v1
	s_nop 1
	v_cndmask_b32_e32 v1, v13, v15, vcc
	v_cmp_ne_u32_e32 vcc, 0, v1
	v_cndmask_b32_e64 v1, v14, v12, s[2:3]
	s_nop 0
	v_cndmask_b32_e32 v5, v5, v9, vcc
	v_cndmask_b32_e32 v4, v4, v1, vcc
.LBB0_4:                                ;   in Loop: Header=BB0_2 Depth=1
	s_andn2_saveexec_b64 s[2:3], s[30:31]
	s_cbranch_execz .LBB0_6
; %bb.5:                                ;   in Loop: Header=BB0_2 Depth=1
	v_cvt_f32_u32_e32 v1, s28
	s_sub_i32 s30, 0, s28
	v_rcp_iflag_f32_e32 v1, v1
	s_nop 0
	v_mul_f32_e32 v1, 0x4f7ffffe, v1
	v_cvt_u32_f32_e32 v1, v1
	v_mul_lo_u32 v4, s30, v1
	v_mul_hi_u32 v4, v1, v4
	v_add_u32_e32 v1, v1, v4
	v_mul_hi_u32 v1, v10, v1
	v_mul_lo_u32 v4, v1, s28
	v_sub_u32_e32 v4, v10, v4
	v_add_u32_e32 v5, 1, v1
	v_subrev_u32_e32 v9, s28, v4
	v_cmp_le_u32_e32 vcc, s28, v4
	s_nop 1
	v_cndmask_b32_e32 v4, v4, v9, vcc
	v_cndmask_b32_e32 v1, v1, v5, vcc
	v_add_u32_e32 v5, 1, v1
	v_cmp_le_u32_e32 vcc, s28, v4
	s_nop 1
	v_cndmask_b32_e32 v4, v1, v5, vcc
	v_mov_b32_e32 v5, v8
.LBB0_6:                                ;   in Loop: Header=BB0_2 Depth=1
	s_or_b64 exec, exec, s[2:3]
	v_mad_u64_u32 v[12:13], s[2:3], v4, s28, 0
	s_load_dwordx2 s[2:3], s[22:23], 0x0
	v_mul_lo_u32 v1, v5, s28
	v_mul_lo_u32 v9, v4, s29
	s_load_dwordx2 s[28:29], s[20:21], 0x0
	s_add_u32 s26, s26, 1
	v_add3_u32 v1, v13, v9, v1
	v_sub_co_u32_e32 v9, vcc, v10, v12
	s_addc_u32 s27, s27, 0
	s_nop 0
	v_subb_co_u32_e32 v1, vcc, v11, v1, vcc
	s_add_u32 s20, s20, 8
	s_waitcnt lgkmcnt(0)
	v_mul_lo_u32 v10, s2, v1
	v_mul_lo_u32 v11, s3, v9
	v_mad_u64_u32 v[6:7], s[2:3], s2, v9, v[6:7]
	s_addc_u32 s21, s21, 0
	v_add3_u32 v7, v11, v7, v10
	v_mul_lo_u32 v1, s28, v1
	v_mul_lo_u32 v10, s29, v9
	v_mad_u64_u32 v[2:3], s[2:3], s28, v9, v[2:3]
	s_add_u32 s22, s22, 8
	v_add3_u32 v3, v10, v3, v1
	s_addc_u32 s23, s23, 0
	v_mov_b64_e32 v[10:11], s[10:11]
	s_add_u32 s24, s24, 8
	v_cmp_ge_u64_e32 vcc, s[26:27], v[10:11]
	s_addc_u32 s25, s25, 0
	s_cbranch_vccnz .LBB0_9
; %bb.7:                                ;   in Loop: Header=BB0_2 Depth=1
	v_mov_b64_e32 v[10:11], v[4:5]
	s_branch .LBB0_2
.LBB0_8:
	v_mov_b64_e32 v[2:3], v[6:7]
	v_mov_b64_e32 v[4:5], v[10:11]
.LBB0_9:
	s_load_dwordx2 s[0:1], s[0:1], 0x28
	s_lshl_b64 s[10:11], s[10:11], 3
	s_add_u32 s2, s14, s10
	s_addc_u32 s3, s15, s11
                                        ; implicit-def: $sgpr14
	s_waitcnt lgkmcnt(0)
	v_cmp_gt_u64_e32 vcc, s[0:1], v[4:5]
	v_cmp_le_u64_e64 s[0:1], s[0:1], v[4:5]
	s_and_saveexec_b64 s[20:21], s[0:1]
	s_xor_b64 s[0:1], exec, s[20:21]
; %bb.10:
	s_mov_b32 s14, 0
                                        ; implicit-def: $vgpr6_vgpr7
; %bb.11:
	s_or_saveexec_b64 s[0:1], s[0:1]
	v_mov_b32_e32 v1, s14
	v_mov_b32_e32 v17, s14
	;; [unrolled: 1-line block ×5, first 2 shown]
                                        ; implicit-def: $vgpr18
                                        ; implicit-def: $vgpr10
                                        ; implicit-def: $vgpr14
                                        ; implicit-def: $vgpr8
                                        ; implicit-def: $vgpr19
                                        ; implicit-def: $vgpr11
                                        ; implicit-def: $vgpr16
                                        ; implicit-def: $vgpr9
	s_xor_b64 exec, exec, s[0:1]
	s_cbranch_execz .LBB0_13
; %bb.12:
	s_add_u32 s10, s12, s10
	s_addc_u32 s11, s13, s11
	s_load_dwordx2 s[10:11], s[10:11], 0x0
	s_waitcnt lgkmcnt(0)
	v_mul_lo_u32 v1, s11, v4
	v_mul_lo_u32 v10, s10, v5
	v_mad_u64_u32 v[8:9], s[10:11], s10, v4, 0
	v_add3_u32 v9, v9, v10, v1
	v_mad_u64_u32 v[10:11], s[10:11], s18, v0, 0
	v_mov_b32_e32 v12, v11
	v_mad_u64_u32 v[12:13], s[10:11], s19, v0, v[12:13]
	v_lshl_add_u64 v[8:9], v[8:9], 2, s[4:5]
	v_or_b32_e32 v1, 64, v0
	v_mov_b32_e32 v11, v12
	v_lshl_add_u64 v[6:7], v[6:7], 2, v[8:9]
	v_mad_u64_u32 v[8:9], s[4:5], s18, v1, 0
	v_lshl_add_u64 v[18:19], v[10:11], 2, v[6:7]
	v_mov_b32_e32 v10, v9
	v_mad_u64_u32 v[10:11], s[4:5], s19, v1, v[10:11]
	v_mov_b32_e32 v9, v10
	v_or_b32_e32 v1, 0x80, v0
	v_lshl_add_u64 v[20:21], v[8:9], 2, v[6:7]
	v_mad_u64_u32 v[8:9], s[4:5], s18, v1, 0
	v_mov_b32_e32 v10, v9
	v_mad_u64_u32 v[10:11], s[4:5], s19, v1, v[10:11]
	v_mov_b32_e32 v9, v10
	v_or_b32_e32 v1, 0xc0, v0
	v_lshl_add_u64 v[22:23], v[8:9], 2, v[6:7]
	v_mad_u64_u32 v[8:9], s[4:5], s18, v1, 0
	;; [unrolled: 6-line block ×6, first 2 shown]
	v_mov_b32_e32 v10, v9
	v_mad_u64_u32 v[10:11], s[4:5], s19, v1, v[10:11]
	v_mov_b32_e32 v9, v10
	v_lshl_add_u64 v[6:7], v[8:9], 2, v[6:7]
	global_load_dword v10, v[26:27], off
	global_load_dword v8, v[28:29], off
	;; [unrolled: 1-line block ×8, first 2 shown]
	v_mov_b32_e32 v1, v0
	s_waitcnt vmcnt(7)
	v_lshrrev_b32_e32 v18, 16, v10
	s_waitcnt vmcnt(6)
	v_lshrrev_b32_e32 v14, 16, v8
	s_waitcnt vmcnt(5)
	v_lshrrev_b32_e32 v19, 16, v11
	s_waitcnt vmcnt(4)
	v_lshrrev_b32_e32 v16, 16, v9
.LBB0_13:
	s_or_b64 exec, exec, s[0:1]
	s_waitcnt vmcnt(3)
	v_lshrrev_b32_e32 v6, 16, v17
	v_sub_f16_e32 v7, v17, v10
	v_sub_f16_e32 v10, v6, v18
	s_waitcnt vmcnt(1)
	v_lshrrev_b32_e32 v18, 16, v15
	v_lshrrev_b32_e32 v20, 16, v12
	s_waitcnt vmcnt(0)
	v_lshrrev_b32_e32 v21, 16, v13
	v_sub_f16_e32 v19, v18, v19
	v_sub_f16_e32 v14, v20, v14
	;; [unrolled: 1-line block ×3, first 2 shown]
	v_fma_f16 v6, v6, 2.0, -v10
	v_fma_f16 v18, v18, 2.0, -v19
	;; [unrolled: 1-line block ×4, first 2 shown]
	v_sub_f16_e32 v8, v12, v8
	v_sub_f16_e32 v18, v6, v18
	;; [unrolled: 1-line block ×5, first 2 shown]
	v_fma_f16 v6, v6, 2.0, -v18
	v_sub_f16_e32 v19, v7, v19
	v_fma_f16 v20, v20, 2.0, -v21
	v_sub_f16_e32 v16, v8, v16
	s_load_dwordx2 s[0:1], s[2:3], 0x0
	v_fma_f16 v17, v17, 2.0, -v7
	v_fma_f16 v15, v15, 2.0, -v11
	;; [unrolled: 1-line block ×4, first 2 shown]
	v_add_f16_e32 v11, v10, v11
	v_fma_f16 v7, v7, 2.0, -v19
	v_add_f16_e32 v9, v14, v9
	v_fma_f16 v8, v8, 2.0, -v16
	v_sub_f16_e32 v20, v6, v20
	s_mov_b32 s2, 0xb9a8
	v_sub_f16_e32 v15, v17, v15
	v_fma_f16 v10, v10, 2.0, -v11
	v_sub_f16_e32 v13, v12, v13
	v_fma_f16 v14, v14, 2.0, -v9
	v_fma_f16 v22, v6, 2.0, -v20
	v_fma_f16 v6, v8, s2, v7
	s_movk_i32 s3, 0x39a8
	v_fma_f16 v17, v17, 2.0, -v15
	v_fma_f16 v12, v12, 2.0, -v13
	v_fma_f16 v23, v14, s2, v10
	v_fma_f16 v14, v14, s2, v6
	v_fma_f16 v6, v16, s3, v19
	v_sub_f16_e32 v12, v17, v12
	v_fma_f16 v8, v8, s3, v23
	v_sub_f16_e32 v21, v15, v21
	v_fma_f16 v23, v9, s3, v11
	v_fma_f16 v9, v9, s2, v6
	v_fma_f16 v17, v17, 2.0, -v12
	v_fma_f16 v7, v7, 2.0, -v14
	;; [unrolled: 1-line block ×4, first 2 shown]
	v_add_f16_e32 v13, v18, v13
	v_fma_f16 v16, v16, s3, v23
	v_lshl_add_u32 v6, v0, 4, 0
	v_pack_b32_f16 v15, v15, v19
	v_pack_b32_f16 v7, v17, v7
	v_fma_f16 v10, v10, 2.0, -v8
	v_fma_f16 v18, v18, 2.0, -v13
	;; [unrolled: 1-line block ×3, first 2 shown]
	ds_write2_b32 v6, v7, v15 offset1:1
	v_pack_b32_f16 v7, v21, v9
	v_pack_b32_f16 v9, v12, v14
	ds_write2_b32 v6, v9, v7 offset0:2 offset1:3
	v_mad_i32_i24 v15, v0, -14, v6
	v_pack_b32_f16 v9, v18, v11
	v_pack_b32_f16 v10, v22, v10
	s_waitcnt lgkmcnt(0)
	; wave barrier
	s_waitcnt lgkmcnt(0)
	ds_read_u16 v7, v15
	ds_read_u16 v17, v15 offset:128
	ds_read_u16 v19, v15 offset:256
	;; [unrolled: 1-line block ×7, first 2 shown]
	s_waitcnt lgkmcnt(0)
	; wave barrier
	s_waitcnt lgkmcnt(0)
	ds_write2_b32 v6, v10, v9 offset1:1
	v_pack_b32_f16 v9, v13, v16
	v_pack_b32_f16 v8, v20, v8
	ds_write2_b32 v6, v8, v9 offset0:2 offset1:3
	v_and_b32_e32 v8, 7, v0
	v_mul_u32_u24_e32 v8, 7, v8
	v_lshlrev_b32_e32 v16, 2, v8
	s_waitcnt lgkmcnt(0)
	; wave barrier
	s_waitcnt lgkmcnt(0)
	global_load_dwordx4 v[8:11], v16, s[8:9]
	global_load_dwordx3 v[12:14], v16, s[8:9] offset:16
	ds_read_u16 v18, v15
	ds_read_u16 v20, v15 offset:128
	ds_read_u16 v22, v15 offset:256
	;; [unrolled: 1-line block ×7, first 2 shown]
	v_lshlrev_b32_e32 v16, 3, v0
	s_movk_i32 s4, 0x1c7
	s_waitcnt lgkmcnt(0)
	; wave barrier
	s_waitcnt vmcnt(1) lgkmcnt(0)
	v_mul_f16_sdwa v32, v20, v8 dst_sel:DWORD dst_unused:UNUSED_PAD src0_sel:DWORD src1_sel:WORD_1
	v_fma_f16 v32, v17, v8, -v32
	v_mul_f16_sdwa v17, v17, v8 dst_sel:DWORD dst_unused:UNUSED_PAD src0_sel:DWORD src1_sel:WORD_1
	v_fma_f16 v8, v20, v8, v17
	v_mul_f16_sdwa v17, v22, v9 dst_sel:DWORD dst_unused:UNUSED_PAD src0_sel:DWORD src1_sel:WORD_1
	v_fma_f16 v17, v19, v9, -v17
	v_mul_f16_sdwa v19, v19, v9 dst_sel:DWORD dst_unused:UNUSED_PAD src0_sel:DWORD src1_sel:WORD_1
	v_fma_f16 v9, v22, v9, v19
	v_mul_f16_sdwa v19, v27, v10 dst_sel:DWORD dst_unused:UNUSED_PAD src0_sel:DWORD src1_sel:WORD_1
	v_mul_f16_sdwa v20, v21, v10 dst_sel:DWORD dst_unused:UNUSED_PAD src0_sel:DWORD src1_sel:WORD_1
	v_fma_f16 v19, v21, v10, -v19
	v_fma_f16 v10, v27, v10, v20
	v_mul_f16_sdwa v20, v28, v11 dst_sel:DWORD dst_unused:UNUSED_PAD src0_sel:DWORD src1_sel:WORD_1
	v_mul_f16_sdwa v21, v23, v11 dst_sel:DWORD dst_unused:UNUSED_PAD src0_sel:DWORD src1_sel:WORD_1
	v_fma_f16 v20, v23, v11, -v20
	v_fma_f16 v11, v28, v11, v21
	s_waitcnt vmcnt(0)
	v_mul_f16_sdwa v21, v29, v12 dst_sel:DWORD dst_unused:UNUSED_PAD src0_sel:DWORD src1_sel:WORD_1
	v_mul_f16_sdwa v22, v24, v12 dst_sel:DWORD dst_unused:UNUSED_PAD src0_sel:DWORD src1_sel:WORD_1
	v_fma_f16 v21, v24, v12, -v21
	v_fma_f16 v12, v29, v12, v22
	v_mul_f16_sdwa v22, v30, v13 dst_sel:DWORD dst_unused:UNUSED_PAD src0_sel:DWORD src1_sel:WORD_1
	v_mul_f16_sdwa v23, v25, v13 dst_sel:DWORD dst_unused:UNUSED_PAD src0_sel:DWORD src1_sel:WORD_1
	v_fma_f16 v22, v25, v13, -v22
	v_fma_f16 v13, v30, v13, v23
	;; [unrolled: 4-line block ×3, first 2 shown]
	v_sub_f16_e32 v11, v18, v11
	v_sub_f16_e32 v13, v9, v13
	;; [unrolled: 1-line block ×5, first 2 shown]
	v_fma_f16 v18, v18, 2.0, -v11
	v_sub_f16_e32 v22, v17, v22
	v_fma_f16 v9, v9, 2.0, -v13
	v_sub_f16_e32 v21, v32, v21
	;; [unrolled: 2-line block ×3, first 2 shown]
	v_fma_f16 v10, v10, 2.0, -v14
	v_fma_f16 v17, v17, 2.0, -v22
	v_fma_f16 v19, v19, 2.0, -v23
	v_sub_f16_e32 v9, v18, v9
	v_sub_f16_e32 v13, v20, v13
	v_add_f16_e32 v22, v11, v22
	v_sub_f16_e32 v10, v8, v10
	v_sub_f16_e32 v14, v21, v14
	v_add_f16_e32 v23, v12, v23
	v_fma_f16 v7, v7, 2.0, -v20
	v_fma_f16 v24, v32, 2.0, -v21
	;; [unrolled: 1-line block ×8, first 2 shown]
	v_sub_f16_e32 v17, v7, v17
	v_sub_f16_e32 v19, v24, v19
	;; [unrolled: 1-line block ×3, first 2 shown]
	v_fma_f16 v8, v21, s2, v20
	v_fma_f16 v26, v12, s2, v11
	v_fma_f16 v24, v24, 2.0, -v19
	v_fma_f16 v8, v12, s2, v8
	v_fma_f16 v21, v21, s3, v26
	v_sub_f16_e32 v10, v17, v10
	v_add_f16_e32 v19, v9, v19
	v_fma_f16 v7, v7, 2.0, -v17
	v_fma_f16 v12, v20, 2.0, -v8
	;; [unrolled: 1-line block ×5, first 2 shown]
	v_fma_f16 v9, v14, s3, v13
	v_fma_f16 v26, v23, s3, v22
	v_sub_f16_e32 v24, v7, v24
	v_fma_f16 v9, v23, s2, v9
	v_fma_f16 v23, v14, s3, v26
	v_bitop3_b32 v14, v16, s4, v0 bitop3:0xc8
	v_fma_f16 v7, v7, 2.0, -v24
	v_fma_f16 v13, v13, 2.0, -v9
	v_lshl_add_u32 v16, v14, 1, 0
	ds_write_b16 v16, v7
	ds_write_b16 v16, v12 offset:16
	ds_write_b16 v16, v11 offset:32
	;; [unrolled: 1-line block ×7, first 2 shown]
	s_waitcnt lgkmcnt(0)
	; wave barrier
	s_waitcnt lgkmcnt(0)
	ds_read_u16 v7, v15
	ds_read_u16 v12, v15 offset:128
	ds_read_u16 v8, v15 offset:256
	;; [unrolled: 1-line block ×7, first 2 shown]
	v_fma_f16 v18, v18, 2.0, -v25
	v_fma_f16 v22, v22, 2.0, -v23
	s_waitcnt lgkmcnt(0)
	; wave barrier
	s_waitcnt lgkmcnt(0)
	ds_write_b16 v16, v18
	ds_write_b16 v16, v20 offset:16
	ds_write_b16 v16, v17 offset:32
	ds_write_b16 v16, v22 offset:48
	ds_write_b16 v16, v25 offset:64
	ds_write_b16 v16, v21 offset:80
	ds_write_b16 v16, v19 offset:96
	ds_write_b16 v16, v23 offset:112
	s_waitcnt lgkmcnt(0)
	; wave barrier
	s_waitcnt lgkmcnt(0)
	s_and_saveexec_b64 s[4:5], vcc
	s_cbranch_execz .LBB0_15
; %bb.14:
	v_mul_u32_u24_e32 v15, 7, v0
	v_lshlrev_b32_e32 v15, 2, v15
	global_load_dwordx4 v[16:19], v15, s[8:9] offset:224
	global_load_dwordx3 v[20:22], v15, s[8:9] offset:240
	v_mul_i32_i24_e32 v0, -14, v0
	v_mul_lo_u32 v15, s1, v4
	v_mul_lo_u32 v23, s0, v5
	v_mad_u64_u32 v[4:5], s[0:1], s0, v4, 0
	v_add_u32_e32 v0, v6, v0
	v_add3_u32 v5, v5, v23, v15
	ds_read_u16 v6, v0 offset:896
	ds_read_u16 v15, v0 offset:768
	;; [unrolled: 1-line block ×7, first 2 shown]
	ds_read_u16 v0, v0
	v_lshl_add_u64 v[4:5], v[4:5], 2, s[6:7]
	v_lshl_add_u64 v[2:3], v[2:3], 2, v[4:5]
	s_waitcnt vmcnt(1) lgkmcnt(4)
	v_mul_f16_sdwa v28, v24, v19 dst_sel:DWORD dst_unused:UNUSED_PAD src0_sel:DWORD src1_sel:WORD_1
	v_mul_f16_sdwa v29, v8, v17 dst_sel:DWORD dst_unused:UNUSED_PAD src0_sel:DWORD src1_sel:WORD_1
	s_waitcnt vmcnt(0)
	v_mul_f16_sdwa v30, v9, v21 dst_sel:DWORD dst_unused:UNUSED_PAD src0_sel:DWORD src1_sel:WORD_1
	s_waitcnt lgkmcnt(1)
	v_mul_f16_sdwa v31, v27, v16 dst_sel:DWORD dst_unused:UNUSED_PAD src0_sel:DWORD src1_sel:WORD_1
	v_mul_f16_sdwa v32, v23, v20 dst_sel:DWORD dst_unused:UNUSED_PAD src0_sel:DWORD src1_sel:WORD_1
	;; [unrolled: 1-line block ×11, first 2 shown]
	v_fma_f16 v14, v14, v19, -v28
	v_fma_f16 v26, v26, v17, v29
	v_fma_f16 v15, v15, v21, v30
	v_fma_f16 v12, v12, v16, -v31
	v_fma_f16 v13, v13, v20, -v32
	v_fma_f16 v25, v25, v18, v33
	v_fma_f16 v6, v6, v22, v34
	v_fma_f16 v10, v10, v18, -v37
	v_fma_f16 v11, v11, v22, -v38
	v_fma_f16 v18, v19, v24, v39
	v_fma_f16 v8, v8, v17, -v40
	v_fma_f16 v9, v9, v21, -v41
	v_fma_f16 v16, v16, v27, v35
	v_fma_f16 v20, v20, v23, v36
	v_sub_f16_e32 v14, v7, v14
	v_sub_f16_e32 v15, v26, v15
	;; [unrolled: 1-line block ×5, first 2 shown]
	s_waitcnt lgkmcnt(0)
	v_sub_f16_e32 v18, v0, v18
	v_sub_f16_e32 v9, v8, v9
	;; [unrolled: 1-line block ×5, first 2 shown]
	v_fma_f16 v7, v7, 2.0, -v14
	v_fma_f16 v8, v8, 2.0, -v9
	;; [unrolled: 1-line block ×6, first 2 shown]
	v_add_f16_e32 v21, v17, v11
	v_add_f16_e32 v22, v9, v18
	v_fma_f16 v9, v16, 2.0, -v17
	v_fma_f16 v6, v25, 2.0, -v6
	v_fma_f16 v11, v20, s3, v19
	v_sub_f16_e32 v8, v7, v8
	v_sub_f16_e32 v15, v0, v15
	;; [unrolled: 1-line block ×3, first 2 shown]
	v_fma_f16 v16, v21, s3, v22
	v_sub_f16_e32 v6, v9, v6
	v_fma_f16 v17, v17, 2.0, -v21
	v_fma_f16 v18, v18, 2.0, -v22
	v_fma_f16 v11, v21, s2, v11
	v_add_f16_e32 v21, v15, v10
	v_fma_f16 v7, v7, 2.0, -v8
	v_fma_f16 v10, v12, 2.0, -v10
	;; [unrolled: 1-line block ×4, first 2 shown]
	v_fma_f16 v16, v20, s3, v16
	v_sub_f16_e32 v20, v8, v6
	v_fma_f16 v24, v17, s2, v18
	v_sub_f16_e32 v10, v7, v10
	v_fma_f16 v0, v0, 2.0, -v15
	v_fma_f16 v6, v9, 2.0, -v6
	v_fma_f16 v23, v13, s2, v14
	v_fma_f16 v13, v13, s3, v24
	v_sub_f16_e32 v12, v0, v6
	v_fma_f16 v24, v7, 2.0, -v10
	v_mad_u64_u32 v[6:7], s[0:1], s16, v1, 0
	v_fma_f16 v25, v0, 2.0, -v12
	v_mov_b32_e32 v0, v7
	v_fma_f16 v17, v17, s2, v23
	v_fma_f16 v23, v8, 2.0, -v20
	v_mad_u64_u32 v[8:9], s[0:1], s17, v1, v[0:1]
	v_mov_b32_e32 v7, v8
	v_lshl_add_u64 v[4:5], v[6:7], 2, v[2:3]
	v_pack_b32_f16 v0, v24, v25
	v_or_b32_e32 v6, 64, v1
	global_store_dword v[4:5], v0, off
	v_mad_u64_u32 v[4:5], s[0:1], s16, v6, 0
	v_mov_b32_e32 v0, v5
	v_mad_u64_u32 v[6:7], s[0:1], s17, v6, v[0:1]
	v_fma_f16 v14, v14, 2.0, -v17
	v_fma_f16 v18, v18, 2.0, -v13
	v_mov_b32_e32 v5, v6
	v_lshl_add_u64 v[4:5], v[4:5], 2, v[2:3]
	v_pack_b32_f16 v0, v14, v18
	v_or_b32_e32 v6, 0x80, v1
	global_store_dword v[4:5], v0, off
	v_mad_u64_u32 v[4:5], s[0:1], s16, v6, 0
	v_mov_b32_e32 v0, v5
	v_mad_u64_u32 v[6:7], s[0:1], s17, v6, v[0:1]
	v_fma_f16 v15, v15, 2.0, -v21
	v_mov_b32_e32 v5, v6
	v_lshl_add_u64 v[4:5], v[4:5], 2, v[2:3]
	v_pack_b32_f16 v0, v23, v15
	v_or_b32_e32 v6, 0xc0, v1
	global_store_dword v[4:5], v0, off
	v_mad_u64_u32 v[4:5], s[0:1], s16, v6, 0
	v_mov_b32_e32 v0, v5
	v_mad_u64_u32 v[6:7], s[0:1], s17, v6, v[0:1]
	v_fma_f16 v19, v19, 2.0, -v11
	v_fma_f16 v22, v22, 2.0, -v16
	v_mov_b32_e32 v5, v6
	v_lshl_add_u64 v[4:5], v[4:5], 2, v[2:3]
	v_pack_b32_f16 v0, v19, v22
	v_or_b32_e32 v6, 0x100, v1
	global_store_dword v[4:5], v0, off
	v_mad_u64_u32 v[4:5], s[0:1], s16, v6, 0
	v_mov_b32_e32 v0, v5
	v_mad_u64_u32 v[6:7], s[0:1], s17, v6, v[0:1]
	v_mov_b32_e32 v5, v6
	v_lshl_add_u64 v[4:5], v[4:5], 2, v[2:3]
	v_pack_b32_f16 v0, v10, v12
	v_or_b32_e32 v6, 0x140, v1
	global_store_dword v[4:5], v0, off
	v_mad_u64_u32 v[4:5], s[0:1], s16, v6, 0
	v_mov_b32_e32 v0, v5
	v_mad_u64_u32 v[6:7], s[0:1], s17, v6, v[0:1]
	;; [unrolled: 8-line block ×3, first 2 shown]
	v_mov_b32_e32 v5, v6
	v_lshl_add_u64 v[4:5], v[4:5], 2, v[2:3]
	v_pack_b32_f16 v0, v20, v21
	global_store_dword v[4:5], v0, off
	v_or_b32_e32 v5, 0x1c0, v1
	v_mad_u64_u32 v[0:1], s[0:1], s16, v5, 0
	v_mov_b32_e32 v4, v1
	v_mad_u64_u32 v[4:5], s[0:1], s17, v5, v[4:5]
	v_mov_b32_e32 v1, v4
	v_lshl_add_u64 v[0:1], v[0:1], 2, v[2:3]
	v_pack_b32_f16 v2, v11, v16
	global_store_dword v[0:1], v2, off
.LBB0_15:
	s_endpgm
	.section	.rodata,"a",@progbits
	.p2align	6, 0x0
	.amdhsa_kernel fft_rtc_fwd_len512_factors_8_8_8_wgs_64_tpt_64_halfLds_half_op_CI_CI_sbrr_dirReg
		.amdhsa_group_segment_fixed_size 0
		.amdhsa_private_segment_fixed_size 0
		.amdhsa_kernarg_size 104
		.amdhsa_user_sgpr_count 2
		.amdhsa_user_sgpr_dispatch_ptr 0
		.amdhsa_user_sgpr_queue_ptr 0
		.amdhsa_user_sgpr_kernarg_segment_ptr 1
		.amdhsa_user_sgpr_dispatch_id 0
		.amdhsa_user_sgpr_kernarg_preload_length 0
		.amdhsa_user_sgpr_kernarg_preload_offset 0
		.amdhsa_user_sgpr_private_segment_size 0
		.amdhsa_uses_dynamic_stack 0
		.amdhsa_enable_private_segment 0
		.amdhsa_system_sgpr_workgroup_id_x 1
		.amdhsa_system_sgpr_workgroup_id_y 0
		.amdhsa_system_sgpr_workgroup_id_z 0
		.amdhsa_system_sgpr_workgroup_info 0
		.amdhsa_system_vgpr_workitem_id 0
		.amdhsa_next_free_vgpr 42
		.amdhsa_next_free_sgpr 32
		.amdhsa_accum_offset 44
		.amdhsa_reserve_vcc 1
		.amdhsa_float_round_mode_32 0
		.amdhsa_float_round_mode_16_64 0
		.amdhsa_float_denorm_mode_32 3
		.amdhsa_float_denorm_mode_16_64 3
		.amdhsa_dx10_clamp 1
		.amdhsa_ieee_mode 1
		.amdhsa_fp16_overflow 0
		.amdhsa_tg_split 0
		.amdhsa_exception_fp_ieee_invalid_op 0
		.amdhsa_exception_fp_denorm_src 0
		.amdhsa_exception_fp_ieee_div_zero 0
		.amdhsa_exception_fp_ieee_overflow 0
		.amdhsa_exception_fp_ieee_underflow 0
		.amdhsa_exception_fp_ieee_inexact 0
		.amdhsa_exception_int_div_zero 0
	.end_amdhsa_kernel
	.text
.Lfunc_end0:
	.size	fft_rtc_fwd_len512_factors_8_8_8_wgs_64_tpt_64_halfLds_half_op_CI_CI_sbrr_dirReg, .Lfunc_end0-fft_rtc_fwd_len512_factors_8_8_8_wgs_64_tpt_64_halfLds_half_op_CI_CI_sbrr_dirReg
                                        ; -- End function
	.section	.AMDGPU.csdata,"",@progbits
; Kernel info:
; codeLenInByte = 4372
; NumSgprs: 38
; NumVgprs: 42
; NumAgprs: 0
; TotalNumVgprs: 42
; ScratchSize: 0
; MemoryBound: 0
; FloatMode: 240
; IeeeMode: 1
; LDSByteSize: 0 bytes/workgroup (compile time only)
; SGPRBlocks: 4
; VGPRBlocks: 5
; NumSGPRsForWavesPerEU: 38
; NumVGPRsForWavesPerEU: 42
; AccumOffset: 44
; Occupancy: 8
; WaveLimiterHint : 1
; COMPUTE_PGM_RSRC2:SCRATCH_EN: 0
; COMPUTE_PGM_RSRC2:USER_SGPR: 2
; COMPUTE_PGM_RSRC2:TRAP_HANDLER: 0
; COMPUTE_PGM_RSRC2:TGID_X_EN: 1
; COMPUTE_PGM_RSRC2:TGID_Y_EN: 0
; COMPUTE_PGM_RSRC2:TGID_Z_EN: 0
; COMPUTE_PGM_RSRC2:TIDIG_COMP_CNT: 0
; COMPUTE_PGM_RSRC3_GFX90A:ACCUM_OFFSET: 10
; COMPUTE_PGM_RSRC3_GFX90A:TG_SPLIT: 0
	.text
	.p2alignl 6, 3212836864
	.fill 256, 4, 3212836864
	.type	__hip_cuid_d9cf9ae5ab56a354,@object ; @__hip_cuid_d9cf9ae5ab56a354
	.section	.bss,"aw",@nobits
	.globl	__hip_cuid_d9cf9ae5ab56a354
__hip_cuid_d9cf9ae5ab56a354:
	.byte	0                               ; 0x0
	.size	__hip_cuid_d9cf9ae5ab56a354, 1

	.ident	"AMD clang version 19.0.0git (https://github.com/RadeonOpenCompute/llvm-project roc-6.4.0 25133 c7fe45cf4b819c5991fe208aaa96edf142730f1d)"
	.section	".note.GNU-stack","",@progbits
	.addrsig
	.addrsig_sym __hip_cuid_d9cf9ae5ab56a354
	.amdgpu_metadata
---
amdhsa.kernels:
  - .agpr_count:     0
    .args:
      - .actual_access:  read_only
        .address_space:  global
        .offset:         0
        .size:           8
        .value_kind:     global_buffer
      - .offset:         8
        .size:           8
        .value_kind:     by_value
      - .actual_access:  read_only
        .address_space:  global
        .offset:         16
        .size:           8
        .value_kind:     global_buffer
      - .actual_access:  read_only
        .address_space:  global
        .offset:         24
        .size:           8
        .value_kind:     global_buffer
      - .actual_access:  read_only
        .address_space:  global
        .offset:         32
        .size:           8
        .value_kind:     global_buffer
      - .offset:         40
        .size:           8
        .value_kind:     by_value
      - .actual_access:  read_only
        .address_space:  global
        .offset:         48
        .size:           8
        .value_kind:     global_buffer
      - .actual_access:  read_only
        .address_space:  global
        .offset:         56
        .size:           8
        .value_kind:     global_buffer
      - .offset:         64
        .size:           4
        .value_kind:     by_value
      - .actual_access:  read_only
        .address_space:  global
        .offset:         72
        .size:           8
        .value_kind:     global_buffer
      - .actual_access:  read_only
        .address_space:  global
        .offset:         80
        .size:           8
        .value_kind:     global_buffer
      - .actual_access:  read_only
        .address_space:  global
        .offset:         88
        .size:           8
        .value_kind:     global_buffer
      - .actual_access:  write_only
        .address_space:  global
        .offset:         96
        .size:           8
        .value_kind:     global_buffer
    .group_segment_fixed_size: 0
    .kernarg_segment_align: 8
    .kernarg_segment_size: 104
    .language:       OpenCL C
    .language_version:
      - 2
      - 0
    .max_flat_workgroup_size: 64
    .name:           fft_rtc_fwd_len512_factors_8_8_8_wgs_64_tpt_64_halfLds_half_op_CI_CI_sbrr_dirReg
    .private_segment_fixed_size: 0
    .sgpr_count:     38
    .sgpr_spill_count: 0
    .symbol:         fft_rtc_fwd_len512_factors_8_8_8_wgs_64_tpt_64_halfLds_half_op_CI_CI_sbrr_dirReg.kd
    .uniform_work_group_size: 1
    .uses_dynamic_stack: false
    .vgpr_count:     42
    .vgpr_spill_count: 0
    .wavefront_size: 64
amdhsa.target:   amdgcn-amd-amdhsa--gfx950
amdhsa.version:
  - 1
  - 2
...

	.end_amdgpu_metadata
